;; amdgpu-corpus repo=ROCm/rocFFT kind=compiled arch=gfx1030 opt=O3
	.text
	.amdgcn_target "amdgcn-amd-amdhsa--gfx1030"
	.amdhsa_code_object_version 6
	.protected	fft_rtc_back_len672_factors_2_2_2_2_2_3_7_wgs_56_tpt_56_halfLds_sp_op_CI_CI_unitstride_sbrr_dirReg ; -- Begin function fft_rtc_back_len672_factors_2_2_2_2_2_3_7_wgs_56_tpt_56_halfLds_sp_op_CI_CI_unitstride_sbrr_dirReg
	.globl	fft_rtc_back_len672_factors_2_2_2_2_2_3_7_wgs_56_tpt_56_halfLds_sp_op_CI_CI_unitstride_sbrr_dirReg
	.p2align	8
	.type	fft_rtc_back_len672_factors_2_2_2_2_2_3_7_wgs_56_tpt_56_halfLds_sp_op_CI_CI_unitstride_sbrr_dirReg,@function
fft_rtc_back_len672_factors_2_2_2_2_2_3_7_wgs_56_tpt_56_halfLds_sp_op_CI_CI_unitstride_sbrr_dirReg: ; @fft_rtc_back_len672_factors_2_2_2_2_2_3_7_wgs_56_tpt_56_halfLds_sp_op_CI_CI_unitstride_sbrr_dirReg
; %bb.0:
	s_clause 0x2
	s_load_dwordx4 s[8:11], s[4:5], 0x0
	s_load_dwordx4 s[12:15], s[4:5], 0x58
	;; [unrolled: 1-line block ×3, first 2 shown]
	v_mul_u32_u24_e32 v1, 0x493, v0
	v_mov_b32_e32 v7, 0
	v_mov_b32_e32 v5, 0
	;; [unrolled: 1-line block ×3, first 2 shown]
	v_add_nc_u32_sdwa v9, s6, v1 dst_sel:DWORD dst_unused:UNUSED_PAD src0_sel:DWORD src1_sel:WORD_1
	v_mov_b32_e32 v10, v7
	s_waitcnt lgkmcnt(0)
	v_cmp_lt_u64_e64 s0, s[10:11], 2
	s_and_b32 vcc_lo, exec_lo, s0
	s_cbranch_vccnz .LBB0_8
; %bb.1:
	s_load_dwordx2 s[0:1], s[4:5], 0x10
	v_mov_b32_e32 v5, 0
	v_mov_b32_e32 v6, 0
	s_add_u32 s2, s18, 8
	s_addc_u32 s3, s19, 0
	v_mov_b32_e32 v1, v5
	s_add_u32 s6, s16, 8
	v_mov_b32_e32 v2, v6
	s_addc_u32 s7, s17, 0
	s_mov_b64 s[22:23], 1
	s_waitcnt lgkmcnt(0)
	s_add_u32 s20, s0, 8
	s_addc_u32 s21, s1, 0
.LBB0_2:                                ; =>This Inner Loop Header: Depth=1
	s_load_dwordx2 s[24:25], s[20:21], 0x0
                                        ; implicit-def: $vgpr3_vgpr4
	s_mov_b32 s0, exec_lo
	s_waitcnt lgkmcnt(0)
	v_or_b32_e32 v8, s25, v10
	v_cmpx_ne_u64_e32 0, v[7:8]
	s_xor_b32 s1, exec_lo, s0
	s_cbranch_execz .LBB0_4
; %bb.3:                                ;   in Loop: Header=BB0_2 Depth=1
	v_cvt_f32_u32_e32 v3, s24
	v_cvt_f32_u32_e32 v4, s25
	s_sub_u32 s0, 0, s24
	s_subb_u32 s26, 0, s25
	v_fmac_f32_e32 v3, 0x4f800000, v4
	v_rcp_f32_e32 v3, v3
	v_mul_f32_e32 v3, 0x5f7ffffc, v3
	v_mul_f32_e32 v4, 0x2f800000, v3
	v_trunc_f32_e32 v4, v4
	v_fmac_f32_e32 v3, 0xcf800000, v4
	v_cvt_u32_f32_e32 v4, v4
	v_cvt_u32_f32_e32 v3, v3
	v_mul_lo_u32 v8, s0, v4
	v_mul_hi_u32 v11, s0, v3
	v_mul_lo_u32 v12, s26, v3
	v_add_nc_u32_e32 v8, v11, v8
	v_mul_lo_u32 v11, s0, v3
	v_add_nc_u32_e32 v8, v8, v12
	v_mul_hi_u32 v12, v3, v11
	v_mul_lo_u32 v13, v3, v8
	v_mul_hi_u32 v14, v3, v8
	v_mul_hi_u32 v15, v4, v11
	v_mul_lo_u32 v11, v4, v11
	v_mul_hi_u32 v16, v4, v8
	v_mul_lo_u32 v8, v4, v8
	v_add_co_u32 v12, vcc_lo, v12, v13
	v_add_co_ci_u32_e32 v13, vcc_lo, 0, v14, vcc_lo
	v_add_co_u32 v11, vcc_lo, v12, v11
	v_add_co_ci_u32_e32 v11, vcc_lo, v13, v15, vcc_lo
	v_add_co_ci_u32_e32 v12, vcc_lo, 0, v16, vcc_lo
	v_add_co_u32 v8, vcc_lo, v11, v8
	v_add_co_ci_u32_e32 v11, vcc_lo, 0, v12, vcc_lo
	v_add_co_u32 v3, vcc_lo, v3, v8
	v_add_co_ci_u32_e32 v4, vcc_lo, v4, v11, vcc_lo
	v_mul_hi_u32 v8, s0, v3
	v_mul_lo_u32 v12, s26, v3
	v_mul_lo_u32 v11, s0, v4
	v_add_nc_u32_e32 v8, v8, v11
	v_mul_lo_u32 v11, s0, v3
	v_add_nc_u32_e32 v8, v8, v12
	v_mul_hi_u32 v12, v3, v11
	v_mul_lo_u32 v13, v3, v8
	v_mul_hi_u32 v14, v3, v8
	v_mul_hi_u32 v15, v4, v11
	v_mul_lo_u32 v11, v4, v11
	v_mul_hi_u32 v16, v4, v8
	v_mul_lo_u32 v8, v4, v8
	v_add_co_u32 v12, vcc_lo, v12, v13
	v_add_co_ci_u32_e32 v13, vcc_lo, 0, v14, vcc_lo
	v_add_co_u32 v11, vcc_lo, v12, v11
	v_add_co_ci_u32_e32 v11, vcc_lo, v13, v15, vcc_lo
	v_add_co_ci_u32_e32 v12, vcc_lo, 0, v16, vcc_lo
	v_add_co_u32 v8, vcc_lo, v11, v8
	v_add_co_ci_u32_e32 v11, vcc_lo, 0, v12, vcc_lo
	v_add_co_u32 v8, vcc_lo, v3, v8
	v_add_co_ci_u32_e32 v13, vcc_lo, v4, v11, vcc_lo
	v_mul_hi_u32 v15, v9, v8
	v_mad_u64_u32 v[11:12], null, v10, v8, 0
	v_mad_u64_u32 v[3:4], null, v9, v13, 0
	;; [unrolled: 1-line block ×3, first 2 shown]
	v_add_co_u32 v3, vcc_lo, v15, v3
	v_add_co_ci_u32_e32 v4, vcc_lo, 0, v4, vcc_lo
	v_add_co_u32 v3, vcc_lo, v3, v11
	v_add_co_ci_u32_e32 v3, vcc_lo, v4, v12, vcc_lo
	v_add_co_ci_u32_e32 v4, vcc_lo, 0, v14, vcc_lo
	v_add_co_u32 v8, vcc_lo, v3, v13
	v_add_co_ci_u32_e32 v11, vcc_lo, 0, v4, vcc_lo
	v_mul_lo_u32 v12, s25, v8
	v_mad_u64_u32 v[3:4], null, s24, v8, 0
	v_mul_lo_u32 v13, s24, v11
	v_sub_co_u32 v3, vcc_lo, v9, v3
	v_add3_u32 v4, v4, v13, v12
	v_sub_nc_u32_e32 v12, v10, v4
	v_subrev_co_ci_u32_e64 v12, s0, s25, v12, vcc_lo
	v_add_co_u32 v13, s0, v8, 2
	v_add_co_ci_u32_e64 v14, s0, 0, v11, s0
	v_sub_co_u32 v15, s0, v3, s24
	v_sub_co_ci_u32_e32 v4, vcc_lo, v10, v4, vcc_lo
	v_subrev_co_ci_u32_e64 v12, s0, 0, v12, s0
	v_cmp_le_u32_e32 vcc_lo, s24, v15
	v_cmp_eq_u32_e64 s0, s25, v4
	v_cndmask_b32_e64 v15, 0, -1, vcc_lo
	v_cmp_le_u32_e32 vcc_lo, s25, v12
	v_cndmask_b32_e64 v16, 0, -1, vcc_lo
	v_cmp_le_u32_e32 vcc_lo, s24, v3
	;; [unrolled: 2-line block ×3, first 2 shown]
	v_cndmask_b32_e64 v17, 0, -1, vcc_lo
	v_cmp_eq_u32_e32 vcc_lo, s25, v12
	v_cndmask_b32_e64 v3, v17, v3, s0
	v_cndmask_b32_e32 v12, v16, v15, vcc_lo
	v_add_co_u32 v15, vcc_lo, v8, 1
	v_add_co_ci_u32_e32 v16, vcc_lo, 0, v11, vcc_lo
	v_cmp_ne_u32_e32 vcc_lo, 0, v12
	v_cndmask_b32_e32 v4, v16, v14, vcc_lo
	v_cndmask_b32_e32 v12, v15, v13, vcc_lo
	v_cmp_ne_u32_e32 vcc_lo, 0, v3
	v_cndmask_b32_e32 v4, v11, v4, vcc_lo
	v_cndmask_b32_e32 v3, v8, v12, vcc_lo
.LBB0_4:                                ;   in Loop: Header=BB0_2 Depth=1
	s_andn2_saveexec_b32 s0, s1
	s_cbranch_execz .LBB0_6
; %bb.5:                                ;   in Loop: Header=BB0_2 Depth=1
	v_cvt_f32_u32_e32 v3, s24
	s_sub_i32 s1, 0, s24
	v_rcp_iflag_f32_e32 v3, v3
	v_mul_f32_e32 v3, 0x4f7ffffe, v3
	v_cvt_u32_f32_e32 v3, v3
	v_mul_lo_u32 v4, s1, v3
	v_mul_hi_u32 v4, v3, v4
	v_add_nc_u32_e32 v3, v3, v4
	v_mul_hi_u32 v3, v9, v3
	v_mul_lo_u32 v4, v3, s24
	v_add_nc_u32_e32 v8, 1, v3
	v_sub_nc_u32_e32 v4, v9, v4
	v_subrev_nc_u32_e32 v11, s24, v4
	v_cmp_le_u32_e32 vcc_lo, s24, v4
	v_cndmask_b32_e32 v4, v4, v11, vcc_lo
	v_cndmask_b32_e32 v3, v3, v8, vcc_lo
	v_cmp_le_u32_e32 vcc_lo, s24, v4
	v_add_nc_u32_e32 v8, 1, v3
	v_mov_b32_e32 v4, v7
	v_cndmask_b32_e32 v3, v3, v8, vcc_lo
.LBB0_6:                                ;   in Loop: Header=BB0_2 Depth=1
	s_or_b32 exec_lo, exec_lo, s0
	v_mul_lo_u32 v8, v4, s24
	v_mul_lo_u32 v13, v3, s25
	s_load_dwordx2 s[0:1], s[6:7], 0x0
	v_mad_u64_u32 v[11:12], null, v3, s24, 0
	s_load_dwordx2 s[24:25], s[2:3], 0x0
	s_add_u32 s22, s22, 1
	s_addc_u32 s23, s23, 0
	s_add_u32 s2, s2, 8
	s_addc_u32 s3, s3, 0
	s_add_u32 s6, s6, 8
	v_add3_u32 v8, v12, v13, v8
	v_sub_co_u32 v9, vcc_lo, v9, v11
	s_addc_u32 s7, s7, 0
	s_add_u32 s20, s20, 8
	v_sub_co_ci_u32_e32 v8, vcc_lo, v10, v8, vcc_lo
	s_addc_u32 s21, s21, 0
	s_waitcnt lgkmcnt(0)
	v_mul_lo_u32 v10, s0, v8
	v_mul_lo_u32 v11, s1, v9
	v_mad_u64_u32 v[5:6], null, s0, v9, v[5:6]
	v_mul_lo_u32 v8, s24, v8
	v_mul_lo_u32 v12, s25, v9
	v_mad_u64_u32 v[1:2], null, s24, v9, v[1:2]
	v_cmp_ge_u64_e64 s0, s[22:23], s[10:11]
	v_add3_u32 v6, v11, v6, v10
	v_add3_u32 v2, v12, v2, v8
	s_and_b32 vcc_lo, exec_lo, s0
	s_cbranch_vccnz .LBB0_9
; %bb.7:                                ;   in Loop: Header=BB0_2 Depth=1
	v_mov_b32_e32 v10, v4
	v_mov_b32_e32 v9, v3
	s_branch .LBB0_2
.LBB0_8:
	v_mov_b32_e32 v1, v5
	v_mov_b32_e32 v3, v9
	;; [unrolled: 1-line block ×4, first 2 shown]
.LBB0_9:
	s_load_dwordx2 s[0:1], s[4:5], 0x28
	v_mul_hi_u32 v17, 0x4924925, v0
	s_lshl_b64 s[4:5], s[10:11], 3
                                        ; implicit-def: $sgpr6_sgpr7
                                        ; implicit-def: $vgpr33
	s_add_u32 s2, s18, s4
	s_addc_u32 s3, s19, s5
	s_waitcnt lgkmcnt(0)
	v_cmp_gt_u64_e32 vcc_lo, s[0:1], v[3:4]
	v_cmp_le_u64_e64 s0, s[0:1], v[3:4]
	s_and_saveexec_b32 s1, s0
	s_xor_b32 s0, exec_lo, s1
; %bb.10:
	v_mul_u32_u24_e32 v5, 56, v17
	s_mov_b64 s[6:7], 0
                                        ; implicit-def: $vgpr17
	v_sub_nc_u32_e32 v33, v0, v5
                                        ; implicit-def: $vgpr0
                                        ; implicit-def: $vgpr5_vgpr6
; %bb.11:
	s_or_saveexec_b32 s1, s0
	v_mov_b32_e32 v10, s7
	v_mov_b32_e32 v20, s7
	;; [unrolled: 1-line block ×12, first 2 shown]
                                        ; implicit-def: $vgpr30
                                        ; implicit-def: $vgpr24
                                        ; implicit-def: $vgpr22
                                        ; implicit-def: $vgpr18
                                        ; implicit-def: $vgpr28
                                        ; implicit-def: $vgpr26
	s_xor_b32 exec_lo, exec_lo, s1
	s_cbranch_execz .LBB0_13
; %bb.12:
	s_add_u32 s4, s16, s4
	s_addc_u32 s5, s17, s5
	v_lshlrev_b64 v[5:6], 3, v[5:6]
	s_load_dwordx2 s[4:5], s[4:5], 0x0
	s_waitcnt lgkmcnt(0)
	v_mul_lo_u32 v9, s5, v3
	v_mul_lo_u32 v10, s4, v4
	v_mad_u64_u32 v[7:8], null, s4, v3, 0
	v_add3_u32 v8, v8, v10, v9
	v_mul_u32_u24_e32 v9, 56, v17
	v_lshlrev_b64 v[7:8], 3, v[7:8]
	v_sub_nc_u32_e32 v33, v0, v9
	v_add_co_u32 v0, s0, s12, v7
	v_add_co_ci_u32_e64 v7, s0, s13, v8, s0
	v_lshlrev_b32_e32 v8, 3, v33
	v_add_co_u32 v0, s0, v0, v5
	v_add_co_ci_u32_e64 v7, s0, v7, v6, s0
	v_or_b32_e32 v9, 0xe00, v8
	v_add_co_u32 v5, s0, v0, v8
	v_add_co_ci_u32_e64 v6, s0, 0, v7, s0
	v_add_co_u32 v11, s0, v0, v9
	v_add_co_ci_u32_e64 v12, s0, 0, v7, s0
	;; [unrolled: 2-line block ×4, first 2 shown]
	s_clause 0xb
	global_load_dwordx2 v[9:10], v[5:6], off
	global_load_dwordx2 v[19:20], v[5:6], off offset:448
	global_load_dwordx2 v[13:14], v[5:6], off offset:896
	global_load_dwordx2 v[15:16], v[5:6], off offset:1344
	global_load_dwordx2 v[7:8], v[5:6], off offset:1792
	global_load_dwordx2 v[25:26], v[31:32], off offset:1088
	global_load_dwordx2 v[21:22], v[17:18], off offset:384
	global_load_dwordx2 v[17:18], v[17:18], off offset:832
	global_load_dwordx2 v[27:28], v[11:12], off
	global_load_dwordx2 v[23:24], v[31:32], off offset:1984
	global_load_dwordx2 v[29:30], v[31:32], off offset:640
	;; [unrolled: 1-line block ×3, first 2 shown]
.LBB0_13:
	s_or_b32 exec_lo, exec_lo, s1
	s_waitcnt vmcnt(6)
	v_sub_f32_e32 v26, v20, v26
	s_waitcnt vmcnt(2)
	v_sub_f32_e32 v24, v16, v24
	;; [unrolled: 2-line block ×3, first 2 shown]
	v_sub_f32_e32 v31, v10, v30
	v_sub_f32_e32 v36, v19, v25
	v_fma_f32 v25, v20, 2.0, -v26
	v_sub_f32_e32 v20, v15, v23
	v_fma_f32 v23, v16, 2.0, -v24
	v_sub_f32_e32 v16, v8, v22
	v_sub_f32_e32 v38, v7, v21
	v_fma_f32 v5, v9, 2.0, -v6
	v_fma_f32 v30, v10, 2.0, -v31
	;; [unrolled: 1-line block ×3, first 2 shown]
	v_sub_f32_e32 v10, v13, v27
	v_fma_f32 v19, v15, 2.0, -v20
	s_waitcnt vmcnt(0)
	v_sub_f32_e32 v22, v11, v17
	v_add_nc_u32_e32 v34, 56, v33
	v_lshl_add_u32 v32, v33, 3, 0
	v_fma_f32 v15, v8, 2.0, -v16
	v_add_nc_u32_e32 v8, 0x70, v33
	v_lshlrev_b32_e32 v0, 2, v33
	v_sub_f32_e32 v28, v14, v28
	v_fma_f32 v37, v7, 2.0, -v38
	v_add_nc_u32_e32 v7, 0xa8, v33
	v_fma_f32 v9, v13, 2.0, -v10
	v_fma_f32 v21, v11, 2.0, -v22
	v_lshl_add_u32 v11, v34, 3, 0
	ds_write_b64 v32, v[5:6]
	v_add_nc_u32_e32 v43, 0xe0, v33
	v_lshl_add_u32 v5, v8, 3, 0
	v_sub_nc_u32_e32 v0, v32, v0
	v_fma_f32 v27, v14, 2.0, -v28
	v_add_nc_u32_e32 v14, 0x118, v33
	v_lshl_add_u32 v6, v7, 3, 0
	s_load_dwordx2 s[2:3], s[2:3], 0x0
	v_sub_f32_e32 v13, v12, v18
	ds_write_b64 v11, v[35:36]
	v_lshl_add_u32 v44, v43, 3, 0
	ds_write_b64 v5, v[9:10]
	ds_write_b64 v6, v[19:20]
	v_add_nc_u32_e32 v20, 0x400, v0
	v_and_b32_e32 v19, 1, v33
	v_lshl_add_u32 v45, v14, 3, 0
	v_add_nc_u32_e32 v29, 0x200, v0
	v_add_nc_u32_e32 v9, 0x800, v0
	v_fma_f32 v12, v12, 2.0, -v13
	ds_write_b64 v44, v[37:38]
	ds_write_b64 v45, v[21:22]
	s_waitcnt lgkmcnt(0)
	s_barrier
	buffer_gl0_inv
	ds_read2_b32 v[17:18], v0 offset1:56
	ds_read2_b32 v[21:22], v20 offset0:80 offset1:136
	ds_read2_b32 v[35:36], v0 offset0:112 offset1:168
	;; [unrolled: 1-line block ×5, first 2 shown]
	s_waitcnt lgkmcnt(0)
	s_barrier
	buffer_gl0_inv
	ds_write_b64 v32, v[30:31]
	ds_write_b64 v11, v[25:26]
	ds_write_b64 v5, v[27:28]
	ds_write_b64 v6, v[23:24]
	ds_write_b64 v44, v[15:16]
	v_lshlrev_b32_e32 v5, 3, v19
	ds_write_b64 v45, v[12:13]
	s_waitcnt lgkmcnt(0)
	s_barrier
	buffer_gl0_inv
	global_load_dwordx2 v[15:16], v5, s[8:9]
	v_lshlrev_b32_e32 v13, 1, v33
	ds_read2_b32 v[23:24], v20 offset0:80 offset1:136
	v_lshlrev_b32_e32 v11, 1, v43
	v_lshlrev_b32_e32 v5, 1, v34
	;; [unrolled: 1-line block ×3, first 2 shown]
	v_and_or_b32 v25, 0x7c, v13, v19
	v_lshlrev_b32_e32 v10, 1, v7
	v_and_b32_e32 v32, 3, v33
	v_lshlrev_b32_e32 v12, 1, v14
	v_and_or_b32 v49, 0xfc, v5, v19
	v_lshl_add_u32 v48, v25, 2, 0
	ds_read2_b32 v[25:26], v20 offset0:192 offset1:248
	ds_read2_b32 v[27:28], v9 offset0:48 offset1:104
	ds_read2_b32 v[30:31], v0 offset1:56
	ds_read2_b32 v[43:44], v0 offset0:112 offset1:168
	ds_read2_b32 v[45:46], v29 offset0:96 offset1:152
	v_and_or_b32 v50, 0x1fc, v6, v19
	v_and_or_b32 v51, 0x1fc, v10, v19
	;; [unrolled: 1-line block ×3, first 2 shown]
	v_lshlrev_b32_e32 v47, 3, v32
	v_and_or_b32 v19, 0x2fc, v12, v19
	v_lshl_add_u32 v49, v49, 2, 0
	v_lshl_add_u32 v50, v50, 2, 0
	;; [unrolled: 1-line block ×4, first 2 shown]
	s_waitcnt vmcnt(0) lgkmcnt(0)
	s_barrier
	buffer_gl0_inv
	v_lshl_add_u32 v19, v19, 2, 0
	v_and_b32_e32 v64, 31, v8
	v_lshrrev_b32_e32 v8, 5, v8
	v_cmp_gt_u32_e64 s0, 40, v33
	v_mul_u32_u24_e32 v8, 0x60, v8
	v_or_b32_e32 v8, v8, v64
	v_mul_f32_e32 v53, v23, v16
	v_mul_f32_e32 v55, v21, v16
	;; [unrolled: 1-line block ×11, first 2 shown]
	v_fmac_f32_e32 v53, v21, v15
	v_mul_f32_e32 v16, v42, v16
	v_fma_f32 v21, v23, v15, -v55
	v_fmac_f32_e32 v54, v22, v15
	v_fma_f32 v22, v24, v15, -v56
	v_fmac_f32_e32 v57, v37, v15
	;; [unrolled: 2-line block ×5, first 2 shown]
	v_fma_f32 v15, v28, v15, -v16
	v_sub_f32_e32 v16, v17, v53
	v_sub_f32_e32 v37, v30, v21
	;; [unrolled: 1-line block ×12, first 2 shown]
	v_fma_f32 v15, v17, 2.0, -v16
	v_fma_f32 v30, v30, 2.0, -v37
	;; [unrolled: 1-line block ×12, first 2 shown]
	ds_write2_b32 v48, v15, v16 offset1:2
	ds_write2_b32 v49, v17, v21 offset1:2
	;; [unrolled: 1-line block ×6, first 2 shown]
	s_waitcnt lgkmcnt(0)
	s_barrier
	buffer_gl0_inv
	ds_read2_b32 v[15:16], v0 offset1:56
	ds_read2_b32 v[17:18], v20 offset0:80 offset1:136
	ds_read2_b32 v[21:22], v0 offset0:112 offset1:168
	;; [unrolled: 1-line block ×5, first 2 shown]
	s_waitcnt lgkmcnt(0)
	s_barrier
	buffer_gl0_inv
	ds_write2_b32 v48, v30, v37 offset1:2
	ds_write2_b32 v49, v31, v38 offset1:2
	;; [unrolled: 1-line block ×6, first 2 shown]
	s_waitcnt lgkmcnt(0)
	s_barrier
	buffer_gl0_inv
	global_load_dwordx2 v[30:31], v47, s[8:9] offset:16
	ds_read2_b32 v[35:36], v20 offset0:80 offset1:136
	ds_read2_b32 v[37:38], v20 offset0:192 offset1:248
	;; [unrolled: 1-line block ×3, first 2 shown]
	v_and_or_b32 v41, 0x1f8, v6, v32
	v_and_or_b32 v42, 0x1f8, v10, v32
	;; [unrolled: 1-line block ×4, first 2 shown]
	v_and_b32_e32 v47, 7, v33
	v_lshl_add_u32 v51, v41, 2, 0
	v_lshl_add_u32 v52, v42, 2, 0
	;; [unrolled: 1-line block ×3, first 2 shown]
	ds_read2_b32 v[41:42], v0 offset1:56
	ds_read2_b32 v[43:44], v0 offset0:112 offset1:168
	ds_read2_b32 v[45:46], v29 offset0:96 offset1:152
	v_lshl_add_u32 v49, v19, 2, 0
	v_and_or_b32 v19, 0xf8, v5, v32
	v_lshlrev_b32_e32 v48, 3, v47
	v_and_or_b32 v32, 0x2f8, v12, v32
	s_waitcnt vmcnt(0) lgkmcnt(0)
	s_barrier
	v_lshl_add_u32 v50, v19, 2, 0
	buffer_gl0_inv
	v_lshl_add_u32 v32, v32, 2, 0
	v_mul_f32_e32 v19, v35, v31
	v_mul_f32_e32 v54, v36, v31
	;; [unrolled: 1-line block ×11, first 2 shown]
	v_fmac_f32_e32 v19, v17, v30
	v_fmac_f32_e32 v54, v18, v30
	v_mul_f32_e32 v17, v28, v31
	v_fma_f32 v18, v35, v30, -v55
	v_fma_f32 v31, v36, v30, -v56
	v_fmac_f32_e32 v57, v23, v30
	v_fma_f32 v23, v37, v30, -v59
	v_fmac_f32_e32 v58, v24, v30
	v_fma_f32 v24, v38, v30, -v60
	v_fmac_f32_e32 v61, v27, v30
	v_fma_f32 v27, v39, v30, -v62
	v_fmac_f32_e32 v63, v28, v30
	v_fma_f32 v17, v40, v30, -v17
	v_sub_f32_e32 v19, v15, v19
	v_sub_f32_e32 v30, v41, v18
	;; [unrolled: 1-line block ×12, first 2 shown]
	v_fma_f32 v15, v15, 2.0, -v19
	v_fma_f32 v39, v41, 2.0, -v30
	;; [unrolled: 1-line block ×12, first 2 shown]
	ds_write2_b32 v49, v15, v19 offset1:4
	ds_write2_b32 v50, v16, v18 offset1:4
	;; [unrolled: 1-line block ×6, first 2 shown]
	s_waitcnt lgkmcnt(0)
	s_barrier
	buffer_gl0_inv
	ds_read2_b32 v[16:17], v0 offset1:56
	ds_read2_b32 v[18:19], v20 offset0:80 offset1:136
	ds_read2_b32 v[21:22], v0 offset0:112 offset1:168
	;; [unrolled: 1-line block ×5, first 2 shown]
	s_waitcnt lgkmcnt(0)
	s_barrier
	buffer_gl0_inv
	ds_write2_b32 v49, v39, v30 offset1:4
	ds_write2_b32 v50, v40, v31 offset1:4
	ds_write2_b32 v51, v41, v35 offset1:4
	ds_write2_b32 v52, v42, v36 offset1:4
	ds_write2_b32 v53, v43, v37 offset1:4
	ds_write2_b32 v32, v44, v38 offset1:4
	s_waitcnt lgkmcnt(0)
	s_barrier
	buffer_gl0_inv
	global_load_dwordx2 v[30:31], v48, s[8:9] offset:48
	ds_read2_b32 v[35:36], v20 offset0:80 offset1:136
	v_and_or_b32 v39, 0x1f0, v6, v47
	ds_read2_b32 v[37:38], v20 offset0:192 offset1:248
	v_and_or_b32 v41, 0x1f0, v10, v47
	v_and_or_b32 v42, 0x3f0, v11, v47
	;; [unrolled: 1-line block ×3, first 2 shown]
	v_lshl_add_u32 v53, v39, 2, 0
	ds_read2_b32 v[39:40], v9 offset0:48 offset1:104
	v_lshl_add_u32 v54, v41, 2, 0
	v_lshl_add_u32 v55, v42, 2, 0
	;; [unrolled: 1-line block ×3, first 2 shown]
	ds_read2_b32 v[41:42], v0 offset1:56
	ds_read2_b32 v[43:44], v0 offset0:112 offset1:168
	ds_read2_b32 v[45:46], v29 offset0:96 offset1:152
	v_and_or_b32 v32, 0x70, v13, v47
	v_and_b32_e32 v15, 15, v33
	v_and_b32_e32 v50, 15, v14
	;; [unrolled: 1-line block ×4, first 2 shown]
	v_lshl_add_u32 v14, v32, 2, 0
	v_and_or_b32 v32, 0xf0, v5, v47
	v_lshlrev_b32_e32 v48, 3, v15
	v_lshlrev_b32_e32 v47, 3, v50
	;; [unrolled: 1-line block ×3, first 2 shown]
	s_waitcnt vmcnt(0) lgkmcnt(0)
	v_lshl_add_u32 v32, v32, 2, 0
	s_barrier
	buffer_gl0_inv
	v_and_or_b32 v13, 0x60, v13, v15
	v_and_or_b32 v12, 0x2e0, v12, v50
	v_lshl_add_u32 v12, v12, 2, 0
	v_mul_f32_e32 v57, v35, v31
	v_mul_f32_e32 v58, v36, v31
	;; [unrolled: 1-line block ×7, first 2 shown]
	v_fmac_f32_e32 v57, v18, v30
	v_mul_f32_e32 v18, v24, v31
	v_fmac_f32_e32 v58, v19, v30
	v_mul_f32_e32 v19, v39, v31
	v_fma_f32 v35, v35, v30, -v59
	v_fma_f32 v36, v36, v30, -v60
	v_mul_f32_e32 v59, v40, v31
	v_mul_f32_e32 v60, v27, v31
	v_fmac_f32_e32 v61, v23, v30
	v_mul_f32_e32 v23, v28, v31
	v_fmac_f32_e32 v62, v24, v30
	v_fma_f32 v24, v37, v30, -v63
	v_fma_f32 v18, v38, v30, -v18
	v_fmac_f32_e32 v19, v27, v30
	v_fmac_f32_e32 v59, v28, v30
	v_fma_f32 v27, v39, v30, -v60
	v_fma_f32 v23, v40, v30, -v23
	v_sub_f32_e32 v28, v16, v57
	v_sub_f32_e32 v30, v41, v35
	v_sub_f32_e32 v31, v17, v58
	v_sub_f32_e32 v35, v42, v36
	v_sub_f32_e32 v36, v21, v61
	v_sub_f32_e32 v37, v43, v24
	v_sub_f32_e32 v24, v22, v62
	v_sub_f32_e32 v38, v44, v18
	v_sub_f32_e32 v18, v25, v19
	v_sub_f32_e32 v39, v45, v27
	v_sub_f32_e32 v19, v26, v59
	v_sub_f32_e32 v40, v46, v23
	v_fma_f32 v16, v16, 2.0, -v28
	v_fma_f32 v41, v41, 2.0, -v30
	;; [unrolled: 1-line block ×12, first 2 shown]
	ds_write2_b32 v14, v16, v28 offset1:8
	ds_write2_b32 v32, v17, v31 offset1:8
	;; [unrolled: 1-line block ×6, first 2 shown]
	s_waitcnt lgkmcnt(0)
	s_barrier
	buffer_gl0_inv
	ds_read2_b32 v[16:17], v0 offset1:56
	ds_read2_b32 v[18:19], v20 offset0:80 offset1:136
	ds_read2_b32 v[21:22], v0 offset0:112 offset1:168
	;; [unrolled: 1-line block ×5, first 2 shown]
	s_waitcnt lgkmcnt(0)
	s_barrier
	buffer_gl0_inv
	ds_write2_b32 v14, v41, v30 offset1:8
	ds_write2_b32 v32, v42, v35 offset1:8
	;; [unrolled: 1-line block ×6, first 2 shown]
	s_waitcnt lgkmcnt(0)
	s_barrier
	buffer_gl0_inv
	s_clause 0x1
	global_load_dwordx2 v[30:31], v48, s[8:9] offset:112
	global_load_dwordx2 v[35:36], v47, s[8:9] offset:112
	v_lshlrev_b32_e32 v14, 3, v49
	s_clause 0x2
	global_load_dwordx2 v[37:38], v52, s[8:9] offset:112
	global_load_dword v32, v47, s[8:9] offset:116
	global_load_dword v45, v14, s[8:9] offset:112
	v_lshl_add_u32 v47, v13, 2, 0
	ds_read2_b32 v[13:14], v20 offset0:80 offset1:136
	v_and_or_b32 v39, 0xe0, v5, v49
	v_and_or_b32 v40, 0x1e0, v6, v15
	ds_read2_b32 v[5:6], v20 offset0:192 offset1:248
	v_and_or_b32 v41, 0x1e0, v10, v51
	v_and_or_b32 v15, 0x3e0, v11, v15
	ds_read2_b32 v[10:11], v9 offset0:48 offset1:104
	v_lshl_add_u32 v49, v39, 2, 0
	v_lshl_add_u32 v50, v40, 2, 0
	;; [unrolled: 1-line block ×3, first 2 shown]
	ds_read2_b32 v[39:40], v0 offset1:56
	ds_read2_b32 v[41:42], v0 offset0:112 offset1:168
	ds_read2_b32 v[43:44], v29 offset0:96 offset1:152
	v_and_b32_e32 v62, 31, v33
	v_and_b32_e32 v63, 31, v34
	v_lshl_add_u32 v15, v15, 2, 0
	s_waitcnt vmcnt(0) lgkmcnt(0)
	s_barrier
	v_lshlrev_b32_e32 v46, 4, v62
	v_lshlrev_b32_e32 v48, 4, v63
	buffer_gl0_inv
	v_mul_f32_e32 v52, v13, v31
	v_mul_f32_e32 v53, v14, v36
	;; [unrolled: 1-line block ×9, first 2 shown]
	v_fmac_f32_e32 v52, v18, v30
	v_fmac_f32_e32 v53, v19, v45
	v_mul_f32_e32 v18, v27, v31
	v_mul_f32_e32 v19, v11, v32
	;; [unrolled: 1-line block ×3, first 2 shown]
	v_fma_f32 v13, v13, v30, -v54
	v_fma_f32 v14, v14, v45, -v36
	v_fmac_f32_e32 v55, v23, v30
	v_fma_f32 v5, v5, v30, -v56
	v_fmac_f32_e32 v57, v24, v37
	;; [unrolled: 2-line block ×4, first 2 shown]
	v_fma_f32 v11, v11, v35, -v31
	v_sub_f32_e32 v18, v16, v52
	v_sub_f32_e32 v13, v39, v13
	;; [unrolled: 1-line block ×12, first 2 shown]
	v_fma_f32 v16, v16, 2.0, -v18
	v_fma_f32 v30, v39, 2.0, -v13
	;; [unrolled: 1-line block ×12, first 2 shown]
	ds_write2_b32 v47, v16, v18 offset1:16
	ds_write2_b32 v49, v17, v23 offset1:16
	;; [unrolled: 1-line block ×6, first 2 shown]
	s_waitcnt lgkmcnt(0)
	s_barrier
	buffer_gl0_inv
	ds_read2_b32 v[25:26], v0 offset1:56
	ds_read2_b32 v[38:39], v29 offset0:96 offset1:152
	ds_read2_b32 v[44:45], v20 offset0:192 offset1:248
	;; [unrolled: 1-line block ×5, first 2 shown]
	s_waitcnt lgkmcnt(0)
	s_barrier
	buffer_gl0_inv
	ds_write2_b32 v47, v30, v13 offset1:16
	ds_write2_b32 v49, v31, v14 offset1:16
	;; [unrolled: 1-line block ×6, first 2 shown]
	v_lshlrev_b32_e32 v14, 4, v64
	v_and_b32_e32 v15, 31, v7
	s_waitcnt lgkmcnt(0)
	s_barrier
	buffer_gl0_inv
	s_clause 0x2
	global_load_dwordx4 v[10:13], v46, s[8:9] offset:240
	global_load_dwordx4 v[21:24], v48, s[8:9] offset:240
	;; [unrolled: 1-line block ×3, first 2 shown]
	v_lshlrev_b32_e32 v14, 4, v15
	v_lshrrev_b32_e32 v16, 5, v34
	ds_read2_b32 v[46:47], v29 offset0:96 offset1:152
	ds_read2_b32 v[60:61], v20 offset0:192 offset1:248
	;; [unrolled: 1-line block ×3, first 2 shown]
	global_load_dwordx4 v[52:55], v14, s[8:9] offset:240
	v_lshrrev_b32_e32 v14, 5, v33
	v_mul_u32_u24_e32 v16, 0x60, v16
	v_lshrrev_b32_e32 v7, 5, v7
	v_lshl_add_u32 v28, v8, 2, 0
	v_mul_u32_u24_e32 v14, 0x60, v14
	v_or_b32_e32 v16, v16, v63
	v_mul_u32_u24_e32 v7, 0x60, v7
	v_or_b32_e32 v14, v14, v62
	ds_read2_b32 v[62:63], v20 offset0:80 offset1:136
	v_lshl_add_u32 v30, v16, 2, 0
	v_or_b32_e32 v7, v7, v15
	v_lshl_add_u32 v31, v14, 2, 0
	v_lshl_add_u32 v27, v7, 2, 0
	ds_read2_b32 v[18:19], v0 offset1:56
	ds_read2_b32 v[7:8], v0 offset0:112 offset1:168
	s_waitcnt vmcnt(0) lgkmcnt(0)
	s_barrier
	buffer_gl0_inv
	v_mul_f32_e32 v40, v46, v11
	v_mul_f32_e32 v9, v38, v11
	;; [unrolled: 1-line block ×8, first 2 shown]
	v_fmac_f32_e32 v40, v38, v10
	v_fma_f32 v46, v46, v10, -v9
	v_fmac_f32_e32 v42, v44, v12
	v_mul_f32_e32 v32, v63, v53
	v_mul_f32_e32 v10, v57, v53
	;; [unrolled: 1-line block ×5, first 2 shown]
	v_fmac_f32_e32 v16, v39, v21
	v_fmac_f32_e32 v37, v45, v23
	v_mul_f32_e32 v22, v56, v49
	v_mul_f32_e32 v9, v58, v51
	v_fmac_f32_e32 v15, v56, v48
	v_fmac_f32_e32 v17, v58, v50
	v_fma_f32 v44, v60, v12, -v11
	v_mul_f32_e32 v11, v59, v55
	v_fmac_f32_e32 v32, v57, v52
	v_fma_f32 v43, v63, v52, -v10
	v_fmac_f32_e32 v36, v59, v54
	v_add_f32_e32 v10, v40, v42
	v_fma_f32 v47, v47, v21, -v13
	v_fma_f32 v45, v61, v23, -v14
	v_add_f32_e32 v13, v16, v37
	v_fma_f32 v41, v62, v48, -v22
	v_fma_f32 v38, v64, v50, -v9
	v_add_f32_e32 v22, v15, v17
	v_fma_f32 v39, v65, v54, -v11
	v_add_f32_e32 v9, v25, v40
	v_sub_f32_e32 v12, v46, v44
	v_add_f32_e32 v35, v32, v36
	v_fma_f32 v25, -0.5, v10, v25
	v_add_f32_e32 v11, v26, v16
	v_sub_f32_e32 v14, v47, v45
	v_add_f32_e32 v21, v5, v15
	v_fmac_f32_e32 v26, -0.5, v13
	v_sub_f32_e32 v23, v41, v38
	v_fma_f32 v10, -0.5, v22, v5
	v_add_f32_e32 v24, v6, v32
	v_sub_f32_e32 v48, v43, v39
	v_add_f32_e32 v49, v9, v42
	v_fmac_f32_e32 v6, -0.5, v35
	v_fmamk_f32 v5, v12, 0xbf5db3d7, v25
	v_fmac_f32_e32 v25, 0x3f5db3d7, v12
	v_add_f32_e32 v50, v11, v37
	v_add_f32_e32 v13, v21, v17
	v_fmamk_f32 v21, v14, 0xbf5db3d7, v26
	v_fmac_f32_e32 v26, 0x3f5db3d7, v14
	v_fmamk_f32 v9, v23, 0xbf5db3d7, v10
	v_add_f32_e32 v11, v24, v36
	v_fmac_f32_e32 v10, 0x3f5db3d7, v23
	v_fmamk_f32 v12, v48, 0xbf5db3d7, v6
	v_fmac_f32_e32 v6, 0x3f5db3d7, v48
	ds_write2_b32 v31, v49, v5 offset1:32
	ds_write_b32 v31, v25 offset:256
	ds_write2_b32 v30, v50, v21 offset1:32
	ds_write_b32 v30, v26 offset:256
	ds_write2_b32 v28, v13, v9 offset1:32
	ds_write_b32 v28, v10 offset:256
	ds_write2_b32 v27, v11, v12 offset1:32
	ds_write_b32 v27, v6 offset:256
	s_waitcnt lgkmcnt(0)
	s_barrier
	buffer_gl0_inv
	ds_read2_b32 v[21:22], v0 offset1:96
	ds_read2_b32 v[23:24], v29 offset0:64 offset1:160
	ds_read2_b32 v[25:26], v20 offset0:128 offset1:224
	ds_read_b32 v35, v0 offset:2304
                                        ; implicit-def: $vgpr5
                                        ; implicit-def: $vgpr14
	s_and_saveexec_b32 s1, s0
	s_cbranch_execz .LBB0_15
; %bb.14:
	v_add_nc_u32_e32 v5, 0x600, v0
	ds_read2_b32 v[13:14], v5 offset0:56 offset1:152
	ds_read2_b32 v[9:10], v0 offset0:56 offset1:152
	;; [unrolled: 1-line block ×3, first 2 shown]
	ds_read_b32 v5, v0 offset:2528
	s_waitcnt lgkmcnt(3)
	v_mov_b32_e32 v6, v13
.LBB0_15:
	s_or_b32 exec_lo, exec_lo, s1
	v_add_f32_e32 v13, v46, v44
	v_add_f32_e32 v46, v18, v46
	v_sub_f32_e32 v40, v40, v42
	v_add_f32_e32 v42, v47, v45
	v_sub_f32_e32 v16, v16, v37
	v_fma_f32 v13, -0.5, v13, v18
	v_add_f32_e32 v18, v19, v47
	v_add_f32_e32 v37, v46, v44
	v_fmac_f32_e32 v19, -0.5, v42
	v_sub_f32_e32 v32, v32, v36
	v_fmamk_f32 v42, v40, 0x3f5db3d7, v13
	v_fmac_f32_e32 v13, 0xbf5db3d7, v40
	v_add_f32_e32 v40, v18, v45
	v_add_f32_e32 v18, v41, v38
	;; [unrolled: 1-line block ×3, first 2 shown]
	v_fmamk_f32 v44, v16, 0x3f5db3d7, v19
	v_fmac_f32_e32 v19, 0xbf5db3d7, v16
	v_add_f32_e32 v41, v7, v41
	v_fma_f32 v16, -0.5, v18, v7
	v_sub_f32_e32 v7, v15, v17
	v_add_f32_e32 v17, v8, v43
	v_fmac_f32_e32 v8, -0.5, v45
	v_add_f32_e32 v36, v41, v38
	s_waitcnt lgkmcnt(0)
	v_fmamk_f32 v15, v7, 0x3f5db3d7, v16
	v_fmac_f32_e32 v16, 0xbf5db3d7, v7
	v_add_f32_e32 v17, v17, v39
	v_fmamk_f32 v18, v32, 0x3f5db3d7, v8
	v_fmac_f32_e32 v8, 0xbf5db3d7, v32
	s_barrier
	buffer_gl0_inv
	ds_write2_b32 v31, v37, v42 offset1:32
	ds_write_b32 v31, v13 offset:256
	ds_write2_b32 v30, v40, v44 offset1:32
	ds_write_b32 v30, v19 offset:256
	;; [unrolled: 2-line block ×4, first 2 shown]
	s_waitcnt lgkmcnt(0)
	s_barrier
	buffer_gl0_inv
	ds_read2_b32 v[27:28], v0 offset1:96
	ds_read2_b32 v[29:30], v29 offset0:64 offset1:160
	ds_read2_b32 v[31:32], v20 offset0:128 offset1:224
	ds_read_b32 v13, v0 offset:2304
                                        ; implicit-def: $vgpr7
                                        ; implicit-def: $vgpr20
	s_and_saveexec_b32 s1, s0
	s_cbranch_execz .LBB0_17
; %bb.16:
	v_add_nc_u32_e32 v7, 0x600, v0
	v_add_nc_u32_e32 v8, 0x200, v0
	ds_read2_b32 v[19:20], v7 offset0:56 offset1:152
	ds_read2_b32 v[15:16], v0 offset0:56 offset1:152
	;; [unrolled: 1-line block ×3, first 2 shown]
	ds_read_b32 v7, v0 offset:2528
	s_waitcnt lgkmcnt(3)
	v_mov_b32_e32 v8, v19
.LBB0_17:
	s_or_b32 exec_lo, exec_lo, s1
	s_and_saveexec_b32 s1, vcc_lo
	s_cbranch_execz .LBB0_20
; %bb.18:
	v_mul_u32_u24_e32 v0, 6, v33
	v_mul_lo_u32 v19, s3, v3
	v_mul_lo_u32 v48, s2, v4
	v_mad_u64_u32 v[3:4], null, s2, v3, 0
	v_lshlrev_b32_e32 v0, 3, v0
	s_clause 0x2
	global_load_dwordx4 v[36:39], v0, s[8:9] offset:752
	global_load_dwordx4 v[40:43], v0, s[8:9] offset:784
	;; [unrolled: 1-line block ×3, first 2 shown]
	v_mul_hi_u32 v0, 0xaaaaaaab, v33
	v_add3_u32 v4, v4, v48, v19
	v_lshlrev_b64 v[48:49], 3, v[1:2]
	v_lshlrev_b64 v[3:4], 3, v[3:4]
	v_lshrrev_b32_e32 v0, 6, v0
	v_add_co_u32 v2, vcc_lo, s14, v3
	v_mul_lo_u32 v19, 0x60, v0
	v_add_co_ci_u32_e32 v3, vcc_lo, s15, v4, vcc_lo
	v_add_co_u32 v2, vcc_lo, v2, v48
	v_add_nc_u32_e32 v0, 56, v33
	v_add_co_ci_u32_e32 v3, vcc_lo, v3, v49, vcc_lo
	v_sub_nc_u32_e32 v1, v33, v19
	v_cmp_gt_u32_e32 vcc_lo, 0x60, v0
	v_lshlrev_b32_e32 v1, 3, v1
	v_add_co_u32 v48, s1, v2, v1
	v_add_co_ci_u32_e64 v49, s1, 0, v3, s1
	v_or_b32_e32 v1, 0xc00, v1
	v_add_co_u32 v50, s1, 0x800, v48
	v_add_co_ci_u32_e64 v51, s1, 0, v49, s1
	v_add_co_u32 v52, s1, v2, v1
	v_add_co_ci_u32_e64 v53, s1, 0, v3, s1
	;; [unrolled: 2-line block ×3, first 2 shown]
	s_waitcnt vmcnt(2)
	v_mul_f32_e32 v1, v22, v36
	s_waitcnt vmcnt(1) lgkmcnt(0)
	v_mul_f32_e32 v4, v13, v43
	s_waitcnt vmcnt(0)
	v_mul_f32_e32 v19, v31, v47
	v_mul_f32_e32 v56, v30, v45
	;; [unrolled: 1-line block ×10, first 2 shown]
	v_fmac_f32_e32 v1, v28, v37
	v_fmac_f32_e32 v4, v35, v42
	;; [unrolled: 1-line block ×6, first 2 shown]
	v_fma_f32 v13, v13, v42, -v43
	v_fma_f32 v22, v28, v36, -v22
	;; [unrolled: 1-line block ×6, first 2 shown]
	v_sub_f32_e32 v28, v1, v4
	v_sub_f32_e32 v29, v19, v56
	v_add_f32_e32 v31, v22, v13
	v_add_f32_e32 v35, v26, v25
	;; [unrolled: 1-line block ×5, first 2 shown]
	v_sub_f32_e32 v30, v57, v58
	v_add_f32_e32 v32, v24, v23
	v_sub_f32_e32 v13, v22, v13
	v_sub_f32_e32 v22, v24, v23
	;; [unrolled: 1-line block ×3, first 2 shown]
	v_add_f32_e32 v37, v31, v35
	v_add_f32_e32 v40, v1, v19
	v_sub_f32_e32 v24, v28, v29
	v_sub_f32_e32 v25, v29, v30
	v_add_f32_e32 v26, v29, v30
	v_sub_f32_e32 v29, v31, v32
	v_sub_f32_e32 v36, v32, v35
	v_sub_f32_e32 v38, v1, v4
	v_sub_f32_e32 v39, v4, v19
	v_sub_f32_e32 v41, v13, v22
	v_sub_f32_e32 v42, v22, v23
	v_add_f32_e32 v22, v22, v23
	v_sub_f32_e32 v30, v30, v28
	v_sub_f32_e32 v1, v19, v1
	;; [unrolled: 1-line block ×3, first 2 shown]
	v_add_f32_e32 v32, v32, v37
	v_add_f32_e32 v4, v4, v40
	v_sub_f32_e32 v31, v35, v31
	v_mul_f32_e32 v23, 0x3f08b237, v25
	v_add_f32_e32 v25, v28, v26
	v_mul_f32_e32 v26, 0x3f4a47b2, v29
	v_mul_f32_e32 v28, 0x3d64c772, v36
	;; [unrolled: 1-line block ×5, first 2 shown]
	v_add_f32_e32 v13, v13, v22
	v_mul_f32_e32 v39, 0xbf5ff5aa, v30
	v_mul_f32_e32 v40, 0xbf5ff5aa, v19
	v_add_f32_e32 v22, v27, v32
	v_add_f32_e32 v21, v21, v4
	v_fmamk_f32 v42, v24, 0xbeae86e6, v23
	v_fmamk_f32 v29, v29, 0x3f4a47b2, v28
	;; [unrolled: 1-line block ×4, first 2 shown]
	v_fma_f32 v39, 0x3eae86e6, v24, -v39
	v_fma_f32 v24, 0xbf3bfb3b, v31, -v26
	;; [unrolled: 1-line block ×6, first 2 shown]
	v_fmamk_f32 v30, v32, 0xbf955555, v22
	v_fmamk_f32 v4, v4, 0xbf955555, v21
	v_fma_f32 v28, 0x3f3bfb3b, v31, -v28
	v_fma_f32 v1, 0x3f3bfb3b, v1, -v36
	v_fmac_f32_e32 v42, 0xbee1c552, v25
	v_fmac_f32_e32 v38, 0xbee1c552, v13
	v_fmac_f32_e32 v39, 0xbee1c552, v25
	v_fmac_f32_e32 v35, 0xbee1c552, v13
	v_fmac_f32_e32 v23, 0xbee1c552, v25
	v_fmac_f32_e32 v19, 0xbee1c552, v13
	v_add_f32_e32 v13, v29, v30
	v_add_f32_e32 v25, v27, v4
	;; [unrolled: 1-line block ×6, first 2 shown]
	v_sub_f32_e32 v32, v13, v42
	v_add_f32_e32 v31, v38, v25
	v_sub_f32_e32 v30, v27, v39
	v_add_f32_e32 v29, v35, v36
	v_add_f32_e32 v24, v39, v27
	v_sub_f32_e32 v26, v28, v23
	v_add_f32_e32 v28, v23, v28
	v_sub_f32_e32 v27, v1, v19
	global_store_dwordx2 v[48:49], v[21:22], off
	v_sub_f32_e32 v21, v25, v38
	v_add_f32_e32 v25, v19, v1
	v_sub_f32_e32 v23, v36, v35
	v_add_f32_e32 v22, v42, v13
	global_store_dwordx2 v[48:49], v[31:32], off offset:768
	global_store_dwordx2 v[48:49], v[29:30], off offset:1536
	global_store_dwordx2 v[50:51], v[27:28], off offset:256
	global_store_dwordx2 v[52:53], v[25:26], off
	global_store_dwordx2 v[50:51], v[23:24], off offset:1792
	global_store_dwordx2 v[54:55], v[21:22], off offset:512
	s_and_b32 exec_lo, exec_lo, vcc_lo
	s_cbranch_execz .LBB0_20
; %bb.19:
	v_subrev_nc_u32_e32 v1, 40, v33
	v_mov_b32_e32 v35, 0
	v_cndmask_b32_e64 v1, v1, v34, s0
	v_mul_i32_i24_e32 v34, 6, v1
	v_mov_b32_e32 v1, v35
	v_lshlrev_b64 v[21:22], 3, v[34:35]
	v_add_nc_u32_e32 v34, 0x98, v33
	v_lshlrev_b64 v[0:1], 3, v[0:1]
	v_lshlrev_b64 v[36:37], 3, v[34:35]
	v_add_co_u32 v29, vcc_lo, s8, v21
	v_add_co_ci_u32_e32 v30, vcc_lo, s9, v22, vcc_lo
	v_add_nc_u32_e32 v34, 0xf8, v33
	v_add_co_u32 v0, vcc_lo, v2, v0
	s_clause 0x2
	global_load_dwordx4 v[21:24], v[29:30], off offset:752
	global_load_dwordx4 v[25:28], v[29:30], off offset:768
	;; [unrolled: 1-line block ×3, first 2 shown]
	v_add_co_ci_u32_e32 v1, vcc_lo, v3, v1, vcc_lo
	v_lshlrev_b64 v[38:39], 3, v[34:35]
	v_add_nc_u32_e32 v34, 0x158, v33
	v_add_co_u32 v36, vcc_lo, v2, v36
	v_add_co_ci_u32_e32 v37, vcc_lo, v3, v37, vcc_lo
	v_lshlrev_b64 v[40:41], 3, v[34:35]
	v_add_nc_u32_e32 v34, 0x1b8, v33
	v_add_co_u32 v38, vcc_lo, v2, v38
	;; [unrolled: 4-line block ×4, first 2 shown]
	v_add_co_ci_u32_e32 v43, vcc_lo, v3, v43, vcc_lo
	v_lshlrev_b64 v[33:34], 3, v[34:35]
	v_add_co_u32 v44, vcc_lo, v2, v44
	v_add_co_ci_u32_e32 v45, vcc_lo, v3, v45, vcc_lo
	v_add_co_u32 v2, vcc_lo, v2, v33
	v_add_co_ci_u32_e32 v3, vcc_lo, v3, v34, vcc_lo
	s_waitcnt vmcnt(2)
	v_mul_f32_e32 v4, v16, v22
	v_mul_f32_e32 v13, v10, v22
	v_mul_f32_e32 v19, v17, v24
	v_mul_f32_e32 v22, v11, v24
	s_waitcnt vmcnt(0)
	v_mul_f32_e32 v34, v20, v30
	v_mul_f32_e32 v30, v14, v30
	;; [unrolled: 1-line block ×8, first 2 shown]
	v_fmac_f32_e32 v4, v10, v21
	v_fma_f32 v10, v16, v21, -v13
	v_fmac_f32_e32 v19, v11, v23
	v_fma_f32 v11, v17, v23, -v22
	;; [unrolled: 2-line block ×6, first 2 shown]
	v_add_f32_e32 v8, v4, v35
	v_add_f32_e32 v13, v10, v5
	v_sub_f32_e32 v5, v10, v5
	v_add_f32_e32 v10, v19, v34
	v_add_f32_e32 v14, v11, v7
	v_sub_f32_e32 v4, v4, v35
	v_sub_f32_e32 v16, v19, v34
	;; [unrolled: 1-line block ×3, first 2 shown]
	v_add_f32_e32 v11, v24, v33
	v_add_f32_e32 v17, v12, v6
	v_sub_f32_e32 v18, v33, v24
	v_sub_f32_e32 v6, v6, v12
	v_add_f32_e32 v12, v10, v8
	v_add_f32_e32 v19, v14, v13
	v_sub_f32_e32 v20, v10, v8
	v_sub_f32_e32 v21, v14, v13
	;; [unrolled: 1-line block ×6, first 2 shown]
	v_add_f32_e32 v22, v18, v16
	v_add_f32_e32 v23, v6, v7
	v_sub_f32_e32 v24, v18, v16
	v_sub_f32_e32 v25, v6, v7
	;; [unrolled: 1-line block ×4, first 2 shown]
	v_add_f32_e32 v11, v11, v12
	v_add_f32_e32 v12, v17, v19
	v_sub_f32_e32 v18, v4, v18
	v_sub_f32_e32 v6, v5, v6
	v_add_f32_e32 v17, v22, v4
	v_add_f32_e32 v19, v23, v5
	v_mul_f32_e32 v8, 0x3f4a47b2, v8
	v_mul_f32_e32 v13, 0x3f4a47b2, v13
	v_mul_f32_e32 v22, 0x3d64c772, v10
	v_mul_f32_e32 v23, 0x3d64c772, v14
	v_mul_f32_e32 v24, 0x3f08b237, v24
	v_mul_f32_e32 v25, 0x3f08b237, v25
	v_mul_f32_e32 v26, 0xbf5ff5aa, v16
	v_mul_f32_e32 v27, 0xbf5ff5aa, v7
	v_add_f32_e32 v4, v9, v11
	v_add_f32_e32 v5, v15, v12
	v_fmamk_f32 v9, v10, 0x3d64c772, v8
	v_fmamk_f32 v10, v14, 0x3d64c772, v13
	v_fma_f32 v14, 0x3f3bfb3b, v20, -v22
	v_fma_f32 v15, 0x3f3bfb3b, v21, -v23
	;; [unrolled: 1-line block ×4, first 2 shown]
	v_fmamk_f32 v20, v18, 0xbeae86e6, v24
	v_fmamk_f32 v21, v6, 0xbeae86e6, v25
	v_fma_f32 v16, 0xbf5ff5aa, v16, -v24
	v_fma_f32 v22, 0xbf5ff5aa, v7, -v25
	v_fma_f32 v18, 0x3eae86e6, v18, -v26
	v_fma_f32 v23, 0x3eae86e6, v6, -v27
	v_fmamk_f32 v6, v11, 0xbf955555, v4
	v_fmamk_f32 v7, v12, 0xbf955555, v5
	v_fmac_f32_e32 v20, 0xbee1c552, v17
	v_fmac_f32_e32 v21, 0xbee1c552, v19
	;; [unrolled: 1-line block ×4, first 2 shown]
	v_add_f32_e32 v12, v9, v6
	v_add_f32_e32 v17, v10, v7
	v_fmac_f32_e32 v23, 0xbee1c552, v19
	v_add_f32_e32 v10, v8, v6
	v_add_f32_e32 v11, v13, v7
	v_fmac_f32_e32 v22, 0xbee1c552, v19
	v_add_f32_e32 v9, v14, v6
	v_add_f32_e32 v13, v15, v7
	global_store_dwordx2 v[0:1], v[4:5], off
	v_add_f32_e32 v0, v21, v12
	v_sub_f32_e32 v1, v17, v20
	v_add_f32_e32 v4, v23, v10
	v_sub_f32_e32 v5, v11, v18
	v_sub_f32_e32 v6, v9, v22
	v_add_f32_e32 v7, v16, v13
	v_add_f32_e32 v8, v22, v9
	v_sub_f32_e32 v9, v13, v16
	v_sub_f32_e32 v10, v10, v23
	v_add_f32_e32 v11, v18, v11
	v_sub_f32_e32 v12, v12, v21
	v_add_f32_e32 v13, v20, v17
	global_store_dwordx2 v[36:37], v[0:1], off
	global_store_dwordx2 v[38:39], v[4:5], off
	global_store_dwordx2 v[40:41], v[6:7], off
	global_store_dwordx2 v[42:43], v[8:9], off
	global_store_dwordx2 v[44:45], v[10:11], off
	global_store_dwordx2 v[2:3], v[12:13], off
.LBB0_20:
	s_endpgm
	.section	.rodata,"a",@progbits
	.p2align	6, 0x0
	.amdhsa_kernel fft_rtc_back_len672_factors_2_2_2_2_2_3_7_wgs_56_tpt_56_halfLds_sp_op_CI_CI_unitstride_sbrr_dirReg
		.amdhsa_group_segment_fixed_size 0
		.amdhsa_private_segment_fixed_size 0
		.amdhsa_kernarg_size 104
		.amdhsa_user_sgpr_count 6
		.amdhsa_user_sgpr_private_segment_buffer 1
		.amdhsa_user_sgpr_dispatch_ptr 0
		.amdhsa_user_sgpr_queue_ptr 0
		.amdhsa_user_sgpr_kernarg_segment_ptr 1
		.amdhsa_user_sgpr_dispatch_id 0
		.amdhsa_user_sgpr_flat_scratch_init 0
		.amdhsa_user_sgpr_private_segment_size 0
		.amdhsa_wavefront_size32 1
		.amdhsa_uses_dynamic_stack 0
		.amdhsa_system_sgpr_private_segment_wavefront_offset 0
		.amdhsa_system_sgpr_workgroup_id_x 1
		.amdhsa_system_sgpr_workgroup_id_y 0
		.amdhsa_system_sgpr_workgroup_id_z 0
		.amdhsa_system_sgpr_workgroup_info 0
		.amdhsa_system_vgpr_workitem_id 0
		.amdhsa_next_free_vgpr 66
		.amdhsa_next_free_sgpr 27
		.amdhsa_reserve_vcc 1
		.amdhsa_reserve_flat_scratch 0
		.amdhsa_float_round_mode_32 0
		.amdhsa_float_round_mode_16_64 0
		.amdhsa_float_denorm_mode_32 3
		.amdhsa_float_denorm_mode_16_64 3
		.amdhsa_dx10_clamp 1
		.amdhsa_ieee_mode 1
		.amdhsa_fp16_overflow 0
		.amdhsa_workgroup_processor_mode 1
		.amdhsa_memory_ordered 1
		.amdhsa_forward_progress 0
		.amdhsa_shared_vgpr_count 0
		.amdhsa_exception_fp_ieee_invalid_op 0
		.amdhsa_exception_fp_denorm_src 0
		.amdhsa_exception_fp_ieee_div_zero 0
		.amdhsa_exception_fp_ieee_overflow 0
		.amdhsa_exception_fp_ieee_underflow 0
		.amdhsa_exception_fp_ieee_inexact 0
		.amdhsa_exception_int_div_zero 0
	.end_amdhsa_kernel
	.text
.Lfunc_end0:
	.size	fft_rtc_back_len672_factors_2_2_2_2_2_3_7_wgs_56_tpt_56_halfLds_sp_op_CI_CI_unitstride_sbrr_dirReg, .Lfunc_end0-fft_rtc_back_len672_factors_2_2_2_2_2_3_7_wgs_56_tpt_56_halfLds_sp_op_CI_CI_unitstride_sbrr_dirReg
                                        ; -- End function
	.section	.AMDGPU.csdata,"",@progbits
; Kernel info:
; codeLenInByte = 7608
; NumSgprs: 29
; NumVgprs: 66
; ScratchSize: 0
; MemoryBound: 0
; FloatMode: 240
; IeeeMode: 1
; LDSByteSize: 0 bytes/workgroup (compile time only)
; SGPRBlocks: 3
; VGPRBlocks: 8
; NumSGPRsForWavesPerEU: 29
; NumVGPRsForWavesPerEU: 66
; Occupancy: 12
; WaveLimiterHint : 1
; COMPUTE_PGM_RSRC2:SCRATCH_EN: 0
; COMPUTE_PGM_RSRC2:USER_SGPR: 6
; COMPUTE_PGM_RSRC2:TRAP_HANDLER: 0
; COMPUTE_PGM_RSRC2:TGID_X_EN: 1
; COMPUTE_PGM_RSRC2:TGID_Y_EN: 0
; COMPUTE_PGM_RSRC2:TGID_Z_EN: 0
; COMPUTE_PGM_RSRC2:TIDIG_COMP_CNT: 0
	.text
	.p2alignl 6, 3214868480
	.fill 48, 4, 3214868480
	.type	__hip_cuid_82cc8228aaeda2e6,@object ; @__hip_cuid_82cc8228aaeda2e6
	.section	.bss,"aw",@nobits
	.globl	__hip_cuid_82cc8228aaeda2e6
__hip_cuid_82cc8228aaeda2e6:
	.byte	0                               ; 0x0
	.size	__hip_cuid_82cc8228aaeda2e6, 1

	.ident	"AMD clang version 19.0.0git (https://github.com/RadeonOpenCompute/llvm-project roc-6.4.0 25133 c7fe45cf4b819c5991fe208aaa96edf142730f1d)"
	.section	".note.GNU-stack","",@progbits
	.addrsig
	.addrsig_sym __hip_cuid_82cc8228aaeda2e6
	.amdgpu_metadata
---
amdhsa.kernels:
  - .args:
      - .actual_access:  read_only
        .address_space:  global
        .offset:         0
        .size:           8
        .value_kind:     global_buffer
      - .offset:         8
        .size:           8
        .value_kind:     by_value
      - .actual_access:  read_only
        .address_space:  global
        .offset:         16
        .size:           8
        .value_kind:     global_buffer
      - .actual_access:  read_only
        .address_space:  global
        .offset:         24
        .size:           8
        .value_kind:     global_buffer
      - .actual_access:  read_only
        .address_space:  global
        .offset:         32
        .size:           8
        .value_kind:     global_buffer
      - .offset:         40
        .size:           8
        .value_kind:     by_value
      - .actual_access:  read_only
        .address_space:  global
        .offset:         48
        .size:           8
        .value_kind:     global_buffer
      - .actual_access:  read_only
        .address_space:  global
        .offset:         56
        .size:           8
        .value_kind:     global_buffer
      - .offset:         64
        .size:           4
        .value_kind:     by_value
      - .actual_access:  read_only
        .address_space:  global
        .offset:         72
        .size:           8
        .value_kind:     global_buffer
      - .actual_access:  read_only
        .address_space:  global
        .offset:         80
        .size:           8
        .value_kind:     global_buffer
      - .actual_access:  read_only
        .address_space:  global
        .offset:         88
        .size:           8
        .value_kind:     global_buffer
      - .actual_access:  write_only
        .address_space:  global
        .offset:         96
        .size:           8
        .value_kind:     global_buffer
    .group_segment_fixed_size: 0
    .kernarg_segment_align: 8
    .kernarg_segment_size: 104
    .language:       OpenCL C
    .language_version:
      - 2
      - 0
    .max_flat_workgroup_size: 56
    .name:           fft_rtc_back_len672_factors_2_2_2_2_2_3_7_wgs_56_tpt_56_halfLds_sp_op_CI_CI_unitstride_sbrr_dirReg
    .private_segment_fixed_size: 0
    .sgpr_count:     29
    .sgpr_spill_count: 0
    .symbol:         fft_rtc_back_len672_factors_2_2_2_2_2_3_7_wgs_56_tpt_56_halfLds_sp_op_CI_CI_unitstride_sbrr_dirReg.kd
    .uniform_work_group_size: 1
    .uses_dynamic_stack: false
    .vgpr_count:     66
    .vgpr_spill_count: 0
    .wavefront_size: 32
    .workgroup_processor_mode: 1
amdhsa.target:   amdgcn-amd-amdhsa--gfx1030
amdhsa.version:
  - 1
  - 2
...

	.end_amdgpu_metadata
